;; amdgpu-corpus repo=ROCm/rocFFT kind=compiled arch=gfx906 opt=O3
	.text
	.amdgcn_target "amdgcn-amd-amdhsa--gfx906"
	.amdhsa_code_object_version 6
	.protected	fft_rtc_back_len4096_factors_16_16_16_wgs_256_tpt_256_halfLds_dp_ip_CI_unitstride_sbrr_C2R_dirReg ; -- Begin function fft_rtc_back_len4096_factors_16_16_16_wgs_256_tpt_256_halfLds_dp_ip_CI_unitstride_sbrr_C2R_dirReg
	.globl	fft_rtc_back_len4096_factors_16_16_16_wgs_256_tpt_256_halfLds_dp_ip_CI_unitstride_sbrr_C2R_dirReg
	.p2align	8
	.type	fft_rtc_back_len4096_factors_16_16_16_wgs_256_tpt_256_halfLds_dp_ip_CI_unitstride_sbrr_C2R_dirReg,@function
fft_rtc_back_len4096_factors_16_16_16_wgs_256_tpt_256_halfLds_dp_ip_CI_unitstride_sbrr_C2R_dirReg: ; @fft_rtc_back_len4096_factors_16_16_16_wgs_256_tpt_256_halfLds_dp_ip_CI_unitstride_sbrr_C2R_dirReg
; %bb.0:
	s_load_dwordx4 s[8:11], s[4:5], 0x0
	s_load_dwordx2 s[2:3], s[4:5], 0x50
	s_load_dwordx2 s[12:13], s[4:5], 0x18
	v_mov_b32_e32 v3, 0
	v_mov_b32_e32 v1, 0
	s_waitcnt lgkmcnt(0)
	v_cmp_lt_u64_e64 s[0:1], s[10:11], 2
	v_mov_b32_e32 v5, s6
	v_mov_b32_e32 v6, v3
	s_and_b64 vcc, exec, s[0:1]
	v_mov_b32_e32 v2, 0
	s_cbranch_vccnz .LBB0_8
; %bb.1:
	s_load_dwordx2 s[0:1], s[4:5], 0x10
	s_add_u32 s6, s12, 8
	s_addc_u32 s7, s13, 0
	v_mov_b32_e32 v1, 0
	v_mov_b32_e32 v2, 0
	s_waitcnt lgkmcnt(0)
	s_add_u32 s14, s0, 8
	s_addc_u32 s15, s1, 0
	s_mov_b64 s[16:17], 1
.LBB0_2:                                ; =>This Inner Loop Header: Depth=1
	s_load_dwordx2 s[18:19], s[14:15], 0x0
                                        ; implicit-def: $vgpr7_vgpr8
	s_waitcnt lgkmcnt(0)
	v_or_b32_e32 v4, s19, v6
	v_cmp_ne_u64_e32 vcc, 0, v[3:4]
	s_and_saveexec_b64 s[0:1], vcc
	s_xor_b64 s[20:21], exec, s[0:1]
	s_cbranch_execz .LBB0_4
; %bb.3:                                ;   in Loop: Header=BB0_2 Depth=1
	v_cvt_f32_u32_e32 v4, s18
	v_cvt_f32_u32_e32 v7, s19
	s_sub_u32 s0, 0, s18
	s_subb_u32 s1, 0, s19
	v_mac_f32_e32 v4, 0x4f800000, v7
	v_rcp_f32_e32 v4, v4
	v_mul_f32_e32 v4, 0x5f7ffffc, v4
	v_mul_f32_e32 v7, 0x2f800000, v4
	v_trunc_f32_e32 v7, v7
	v_mac_f32_e32 v4, 0xcf800000, v7
	v_cvt_u32_f32_e32 v7, v7
	v_cvt_u32_f32_e32 v4, v4
	v_mul_lo_u32 v8, s0, v7
	v_mul_hi_u32 v9, s0, v4
	v_mul_lo_u32 v11, s1, v4
	v_mul_lo_u32 v10, s0, v4
	v_add_u32_e32 v8, v9, v8
	v_add_u32_e32 v8, v8, v11
	v_mul_hi_u32 v9, v4, v10
	v_mul_lo_u32 v11, v4, v8
	v_mul_hi_u32 v13, v4, v8
	v_mul_hi_u32 v12, v7, v10
	v_mul_lo_u32 v10, v7, v10
	v_mul_hi_u32 v14, v7, v8
	v_add_co_u32_e32 v9, vcc, v9, v11
	v_addc_co_u32_e32 v11, vcc, 0, v13, vcc
	v_mul_lo_u32 v8, v7, v8
	v_add_co_u32_e32 v9, vcc, v9, v10
	v_addc_co_u32_e32 v9, vcc, v11, v12, vcc
	v_addc_co_u32_e32 v10, vcc, 0, v14, vcc
	v_add_co_u32_e32 v8, vcc, v9, v8
	v_addc_co_u32_e32 v9, vcc, 0, v10, vcc
	v_add_co_u32_e32 v4, vcc, v4, v8
	v_addc_co_u32_e32 v7, vcc, v7, v9, vcc
	v_mul_lo_u32 v8, s0, v7
	v_mul_hi_u32 v9, s0, v4
	v_mul_lo_u32 v10, s1, v4
	v_mul_lo_u32 v11, s0, v4
	v_add_u32_e32 v8, v9, v8
	v_add_u32_e32 v8, v8, v10
	v_mul_lo_u32 v12, v4, v8
	v_mul_hi_u32 v13, v4, v11
	v_mul_hi_u32 v14, v4, v8
	;; [unrolled: 1-line block ×3, first 2 shown]
	v_mul_lo_u32 v11, v7, v11
	v_mul_hi_u32 v9, v7, v8
	v_add_co_u32_e32 v12, vcc, v13, v12
	v_addc_co_u32_e32 v13, vcc, 0, v14, vcc
	v_mul_lo_u32 v8, v7, v8
	v_add_co_u32_e32 v11, vcc, v12, v11
	v_addc_co_u32_e32 v10, vcc, v13, v10, vcc
	v_addc_co_u32_e32 v9, vcc, 0, v9, vcc
	v_add_co_u32_e32 v8, vcc, v10, v8
	v_addc_co_u32_e32 v9, vcc, 0, v9, vcc
	v_add_co_u32_e32 v4, vcc, v4, v8
	v_addc_co_u32_e32 v9, vcc, v7, v9, vcc
	v_mad_u64_u32 v[7:8], s[0:1], v5, v9, 0
	v_mul_hi_u32 v10, v5, v4
	v_add_co_u32_e32 v11, vcc, v10, v7
	v_addc_co_u32_e32 v12, vcc, 0, v8, vcc
	v_mad_u64_u32 v[7:8], s[0:1], v6, v4, 0
	v_mad_u64_u32 v[9:10], s[0:1], v6, v9, 0
	v_add_co_u32_e32 v4, vcc, v11, v7
	v_addc_co_u32_e32 v4, vcc, v12, v8, vcc
	v_addc_co_u32_e32 v7, vcc, 0, v10, vcc
	v_add_co_u32_e32 v4, vcc, v4, v9
	v_addc_co_u32_e32 v9, vcc, 0, v7, vcc
	v_mul_lo_u32 v10, s19, v4
	v_mul_lo_u32 v11, s18, v9
	v_mad_u64_u32 v[7:8], s[0:1], s18, v4, 0
	v_add3_u32 v8, v8, v11, v10
	v_sub_u32_e32 v10, v6, v8
	v_mov_b32_e32 v11, s19
	v_sub_co_u32_e32 v7, vcc, v5, v7
	v_subb_co_u32_e64 v10, s[0:1], v10, v11, vcc
	v_subrev_co_u32_e64 v11, s[0:1], s18, v7
	v_subbrev_co_u32_e64 v10, s[0:1], 0, v10, s[0:1]
	v_cmp_le_u32_e64 s[0:1], s19, v10
	v_cndmask_b32_e64 v12, 0, -1, s[0:1]
	v_cmp_le_u32_e64 s[0:1], s18, v11
	v_cndmask_b32_e64 v11, 0, -1, s[0:1]
	v_cmp_eq_u32_e64 s[0:1], s19, v10
	v_cndmask_b32_e64 v10, v12, v11, s[0:1]
	v_add_co_u32_e64 v11, s[0:1], 2, v4
	v_addc_co_u32_e64 v12, s[0:1], 0, v9, s[0:1]
	v_add_co_u32_e64 v13, s[0:1], 1, v4
	v_addc_co_u32_e64 v14, s[0:1], 0, v9, s[0:1]
	v_subb_co_u32_e32 v8, vcc, v6, v8, vcc
	v_cmp_ne_u32_e64 s[0:1], 0, v10
	v_cmp_le_u32_e32 vcc, s19, v8
	v_cndmask_b32_e64 v10, v14, v12, s[0:1]
	v_cndmask_b32_e64 v12, 0, -1, vcc
	v_cmp_le_u32_e32 vcc, s18, v7
	v_cndmask_b32_e64 v7, 0, -1, vcc
	v_cmp_eq_u32_e32 vcc, s19, v8
	v_cndmask_b32_e32 v7, v12, v7, vcc
	v_cmp_ne_u32_e32 vcc, 0, v7
	v_cndmask_b32_e64 v7, v13, v11, s[0:1]
	v_cndmask_b32_e32 v8, v9, v10, vcc
	v_cndmask_b32_e32 v7, v4, v7, vcc
.LBB0_4:                                ;   in Loop: Header=BB0_2 Depth=1
	s_andn2_saveexec_b64 s[0:1], s[20:21]
	s_cbranch_execz .LBB0_6
; %bb.5:                                ;   in Loop: Header=BB0_2 Depth=1
	v_cvt_f32_u32_e32 v4, s18
	s_sub_i32 s20, 0, s18
	v_rcp_iflag_f32_e32 v4, v4
	v_mul_f32_e32 v4, 0x4f7ffffe, v4
	v_cvt_u32_f32_e32 v4, v4
	v_mul_lo_u32 v7, s20, v4
	v_mul_hi_u32 v7, v4, v7
	v_add_u32_e32 v4, v4, v7
	v_mul_hi_u32 v4, v5, v4
	v_mul_lo_u32 v7, v4, s18
	v_add_u32_e32 v8, 1, v4
	v_sub_u32_e32 v7, v5, v7
	v_subrev_u32_e32 v9, s18, v7
	v_cmp_le_u32_e32 vcc, s18, v7
	v_cndmask_b32_e32 v7, v7, v9, vcc
	v_cndmask_b32_e32 v4, v4, v8, vcc
	v_add_u32_e32 v8, 1, v4
	v_cmp_le_u32_e32 vcc, s18, v7
	v_cndmask_b32_e32 v7, v4, v8, vcc
	v_mov_b32_e32 v8, v3
.LBB0_6:                                ;   in Loop: Header=BB0_2 Depth=1
	s_or_b64 exec, exec, s[0:1]
	v_mul_lo_u32 v4, v8, s18
	v_mul_lo_u32 v11, v7, s19
	v_mad_u64_u32 v[9:10], s[0:1], v7, s18, 0
	s_load_dwordx2 s[0:1], s[6:7], 0x0
	s_add_u32 s16, s16, 1
	v_add3_u32 v4, v10, v11, v4
	v_sub_co_u32_e32 v5, vcc, v5, v9
	v_subb_co_u32_e32 v4, vcc, v6, v4, vcc
	s_waitcnt lgkmcnt(0)
	v_mul_lo_u32 v4, s0, v4
	v_mul_lo_u32 v6, s1, v5
	v_mad_u64_u32 v[1:2], s[0:1], s0, v5, v[1:2]
	s_addc_u32 s17, s17, 0
	s_add_u32 s6, s6, 8
	v_add3_u32 v2, v6, v2, v4
	v_mov_b32_e32 v4, s10
	v_mov_b32_e32 v5, s11
	s_addc_u32 s7, s7, 0
	v_cmp_ge_u64_e32 vcc, s[16:17], v[4:5]
	s_add_u32 s14, s14, 8
	s_addc_u32 s15, s15, 0
	s_cbranch_vccnz .LBB0_9
; %bb.7:                                ;   in Loop: Header=BB0_2 Depth=1
	v_mov_b32_e32 v5, v7
	v_mov_b32_e32 v6, v8
	s_branch .LBB0_2
.LBB0_8:
	v_mov_b32_e32 v8, v6
	v_mov_b32_e32 v7, v5
.LBB0_9:
	s_lshl_b64 s[0:1], s[10:11], 3
	s_add_u32 s0, s12, s0
	s_addc_u32 s1, s13, s1
	s_load_dwordx2 s[6:7], s[0:1], 0x0
	s_load_dwordx2 s[10:11], s[4:5], 0x20
	v_lshlrev_b32_e32 v12, 4, v0
	s_waitcnt lgkmcnt(0)
	v_mul_lo_u32 v3, s6, v8
	v_mul_lo_u32 v4, s7, v7
	v_mad_u64_u32 v[1:2], s[0:1], s6, v7, v[1:2]
	v_cmp_gt_u64_e32 vcc, s[10:11], v[7:8]
	v_mov_b32_e32 v7, v0
	v_add3_u32 v2, v4, v2, v3
	v_lshlrev_b64 v[5:6], 4, v[1:2]
	s_and_saveexec_b64 s[4:5], vcc
	s_cbranch_execz .LBB0_13
; %bb.10:
	v_mov_b32_e32 v1, s3
	v_add_co_u32_e64 v11, s[0:1], s2, v5
	v_addc_co_u32_e64 v69, s[0:1], v1, v6, s[0:1]
	v_or_b32_e32 v73, 0x3000, v12
	v_add_co_u32_e64 v1, s[0:1], v11, v73
	v_addc_co_u32_e64 v2, s[0:1], 0, v69, s[0:1]
	v_or_b32_e32 v74, 0x7000, v12
	;; [unrolled: 3-line block ×3, first 2 shown]
	v_add_co_u32_e64 v17, s[0:1], v11, v7
	v_addc_co_u32_e64 v18, s[0:1], 0, v69, s[0:1]
	global_load_dwordx4 v[7:10], v[1:2], off
	global_load_dwordx4 v[13:16], v[17:18], off
	v_or_b32_e32 v1, 0x8000, v12
	v_add_co_u32_e64 v1, s[0:1], v11, v1
	v_or_b32_e32 v75, 0xb000, v12
	v_addc_co_u32_e64 v2, s[0:1], 0, v69, s[0:1]
	global_load_dwordx4 v[17:20], v[3:4], off
	global_load_dwordx4 v[21:24], v[1:2], off
	v_add_co_u32_e64 v1, s[0:1], v11, v75
	v_or_b32_e32 v3, 0xc000, v12
	v_addc_co_u32_e64 v2, s[0:1], 0, v69, s[0:1]
	v_add_co_u32_e64 v3, s[0:1], v11, v3
	v_addc_co_u32_e64 v4, s[0:1], 0, v69, s[0:1]
	global_load_dwordx4 v[25:28], v[1:2], off
	global_load_dwordx4 v[29:32], v[3:4], off
	v_add_co_u32_e64 v1, s[0:1], v11, v12
	v_addc_co_u32_e64 v2, s[0:1], 0, v69, s[0:1]
	global_load_dwordx4 v[33:36], v[1:2], off
	v_or_b32_e32 v1, 0x1000, v12
	v_add_co_u32_e64 v1, s[0:1], v11, v1
	v_addc_co_u32_e64 v2, s[0:1], 0, v69, s[0:1]
	v_or_b32_e32 v3, 0x2000, v12
	v_add_co_u32_e64 v3, s[0:1], v11, v3
	v_addc_co_u32_e64 v4, s[0:1], 0, v69, s[0:1]
	global_load_dwordx4 v[37:40], v[1:2], off
	global_load_dwordx4 v[41:44], v[3:4], off
	v_or_b32_e32 v1, 0x5000, v12
	v_add_co_u32_e64 v1, s[0:1], v11, v1
	v_addc_co_u32_e64 v2, s[0:1], 0, v69, s[0:1]
	v_or_b32_e32 v3, 0x6000, v12
	v_add_co_u32_e64 v3, s[0:1], v11, v3
	v_addc_co_u32_e64 v4, s[0:1], 0, v69, s[0:1]
	global_load_dwordx4 v[45:48], v[1:2], off
	global_load_dwordx4 v[49:52], v[3:4], off
	v_or_b32_e32 v1, 0x9000, v12
	v_add_co_u32_e64 v1, s[0:1], v11, v1
	v_addc_co_u32_e64 v2, s[0:1], 0, v69, s[0:1]
	v_or_b32_e32 v3, 0xa000, v12
	v_add_co_u32_e64 v3, s[0:1], v11, v3
	v_addc_co_u32_e64 v4, s[0:1], 0, v69, s[0:1]
	global_load_dwordx4 v[53:56], v[1:2], off
	global_load_dwordx4 v[57:60], v[3:4], off
	v_or_b32_e32 v1, 0xd000, v12
	v_add_co_u32_e64 v1, s[0:1], v11, v1
	v_addc_co_u32_e64 v2, s[0:1], 0, v69, s[0:1]
	v_or_b32_e32 v3, 0xe000, v12
	v_add_co_u32_e64 v3, s[0:1], v11, v3
	v_or_b32_e32 v76, 0xf000, v12
	v_addc_co_u32_e64 v4, s[0:1], 0, v69, s[0:1]
	global_load_dwordx4 v[61:64], v[1:2], off
	global_load_dwordx4 v[65:68], v[3:4], off
	v_add_co_u32_e64 v1, s[0:1], v11, v76
	v_addc_co_u32_e64 v2, s[0:1], 0, v69, s[0:1]
	global_load_dwordx4 v[69:72], v[1:2], off
	v_add_u32_e32 v3, 0, v73
	s_movk_i32 s0, 0xff
	v_cmp_eq_u32_e64 s[0:1], s0, v0
	s_waitcnt vmcnt(15)
	ds_write_b128 v3, v[7:10]
	v_add_u32_e32 v3, 0, v74
	v_mov_b32_e32 v7, v0
	s_waitcnt vmcnt(13)
	ds_write_b128 v3, v[17:20]
	v_add_u32_e32 v3, 0, v75
	s_waitcnt vmcnt(11)
	ds_write_b128 v3, v[25:28]
	v_add_u32_e32 v3, 0, v12
	s_waitcnt vmcnt(9)
	ds_write_b128 v3, v[33:36]
	s_waitcnt vmcnt(8)
	ds_write_b128 v3, v[37:40] offset:4096
	s_waitcnt vmcnt(7)
	ds_write_b128 v3, v[41:44] offset:8192
	ds_write_b128 v3, v[13:16] offset:16384
	s_waitcnt vmcnt(6)
	ds_write_b128 v3, v[45:48] offset:20480
	s_waitcnt vmcnt(5)
	ds_write_b128 v3, v[49:52] offset:24576
	ds_write_b128 v3, v[21:24] offset:32768
	;; [unrolled: 5-line block ×3, first 2 shown]
	s_waitcnt vmcnt(2)
	ds_write_b128 v3, v[61:64] offset:53248
	s_waitcnt vmcnt(1)
	ds_write_b128 v3, v[65:68] offset:57344
	v_add_u32_e32 v3, 0, v76
	s_waitcnt vmcnt(0)
	ds_write_b128 v3, v[69:72]
	s_and_saveexec_b64 s[6:7], s[0:1]
	s_cbranch_execz .LBB0_12
; %bb.11:
	global_load_dwordx4 v[7:10], v[1:2], off offset:16
	s_waitcnt vmcnt(0)
	ds_write_b128 v3, v[7:10] offset:16
	v_mov_b32_e32 v7, 0xff
.LBB0_12:
	s_or_b64 exec, exec, s[6:7]
.LBB0_13:
	s_or_b64 exec, exec, s[4:5]
	v_sub_u32_e32 v1, 0x1000, v7
	v_lshl_add_u32 v13, v7, 4, 0
	s_waitcnt lgkmcnt(0)
	s_barrier
	v_lshl_add_u32 v8, v1, 4, 0
	ds_read_b64 v[3:4], v13
	ds_read_b64 v[9:10], v8
	s_add_u32 s4, s8, 0xff00
	s_addc_u32 s5, s9, 0
	v_cmp_ne_u32_e64 s[0:1], 0, v7
	v_lshlrev_b32_e32 v16, 4, v7
	s_waitcnt lgkmcnt(0)
	v_add_f64 v[1:2], v[3:4], v[9:10]
	v_add_f64 v[3:4], v[3:4], -v[9:10]
	s_and_saveexec_b64 s[6:7], s[0:1]
	s_xor_b64 s[0:1], exec, s[6:7]
	s_cbranch_execz .LBB0_15
; %bb.14:
	global_load_dwordx4 v[17:20], v16, s[4:5]
	ds_read_b64 v[9:10], v8 offset:8
	ds_read_b64 v[14:15], v13 offset:8
	s_waitcnt lgkmcnt(0)
	v_add_f64 v[23:24], v[9:10], v[14:15]
	v_add_f64 v[9:10], v[14:15], -v[9:10]
	s_waitcnt vmcnt(0)
	v_fma_f64 v[14:15], v[3:4], v[19:20], v[1:2]
	v_fma_f64 v[21:22], v[23:24], v[19:20], v[9:10]
	v_fma_f64 v[1:2], -v[3:4], v[19:20], v[1:2]
	v_fma_f64 v[9:10], v[23:24], v[19:20], -v[9:10]
	v_fma_f64 v[19:20], -v[23:24], v[17:18], v[14:15]
	v_fma_f64 v[21:22], v[3:4], v[17:18], v[21:22]
	v_fma_f64 v[1:2], v[23:24], v[17:18], v[1:2]
	;; [unrolled: 1-line block ×3, first 2 shown]
	ds_write_b128 v13, v[19:22]
	ds_write_b128 v8, v[1:4]
                                        ; implicit-def: $vgpr1_vgpr2
.LBB0_15:
	s_andn2_saveexec_b64 s[0:1], s[0:1]
	s_cbranch_execz .LBB0_17
; %bb.16:
	ds_write_b128 v13, v[1:4]
	v_mov_b32_e32 v8, 0
	ds_read_b128 v[1:4], v8 offset:32768
	s_waitcnt lgkmcnt(0)
	v_add_f64 v[1:2], v[1:2], v[1:2]
	v_mul_f64 v[3:4], v[3:4], -2.0
	ds_write_b128 v8, v[1:4] offset:32768
.LBB0_17:
	s_or_b64 exec, exec, s[0:1]
	v_or_b32_e32 v1, 0x1000, v16
	global_load_dwordx4 v[1:4], v1, s[4:5]
	v_or_b32_e32 v8, 0x2000, v16
	global_load_dwordx4 v[8:11], v8, s[4:5]
	v_or_b32_e32 v34, 0x3000, v12
	v_sub_u32_e32 v17, 0, v16
	ds_read_b128 v[18:21], v13 offset:4096
	ds_read_b128 v[22:25], v17 offset:61440
	global_load_dwordx4 v[26:29], v34, s[4:5]
	s_mov_b32 s0, 0x667f3bcd
	s_mov_b32 s1, 0xbfe6a09e
	;; [unrolled: 1-line block ×3, first 2 shown]
	s_waitcnt lgkmcnt(0)
	v_add_f64 v[14:15], v[18:19], v[22:23]
	v_add_f64 v[30:31], v[24:25], v[20:21]
	v_add_f64 v[32:33], v[18:19], -v[22:23]
	v_add_f64 v[18:19], v[20:21], -v[24:25]
	s_mov_b32 s7, 0xbfed906b
	s_mov_b32 s15, 0x3fed906b
	;; [unrolled: 1-line block ×7, first 2 shown]
	s_movk_i32 s16, 0xf0
	v_mad_u32_u24 v97, v7, s16, v13
	s_waitcnt vmcnt(2)
	v_fma_f64 v[20:21], v[32:33], v[3:4], v[14:15]
	v_fma_f64 v[22:23], v[30:31], v[3:4], v[18:19]
	v_fma_f64 v[14:15], -v[32:33], v[3:4], v[14:15]
	v_fma_f64 v[3:4], v[30:31], v[3:4], -v[18:19]
	v_fma_f64 v[18:19], -v[30:31], v[1:2], v[20:21]
	v_fma_f64 v[20:21], v[32:33], v[1:2], v[22:23]
	v_fma_f64 v[22:23], v[30:31], v[1:2], v[14:15]
	;; [unrolled: 1-line block ×3, first 2 shown]
	ds_write_b128 v13, v[18:21] offset:4096
	ds_write_b128 v17, v[22:25] offset:61440
	v_or_b32_e32 v22, 0x4000, v16
	ds_read_b128 v[1:4], v13 offset:8192
	ds_read_b128 v[18:21], v17 offset:57344
	global_load_dwordx4 v[22:25], v22, s[4:5]
	s_waitcnt lgkmcnt(0)
	v_add_f64 v[14:15], v[1:2], v[18:19]
	v_add_f64 v[30:31], v[20:21], v[3:4]
	v_add_f64 v[32:33], v[1:2], -v[18:19]
	v_add_f64 v[1:2], v[3:4], -v[20:21]
	s_waitcnt vmcnt(2)
	v_fma_f64 v[3:4], v[32:33], v[10:11], v[14:15]
	v_fma_f64 v[18:19], v[30:31], v[10:11], v[1:2]
	v_fma_f64 v[14:15], -v[32:33], v[10:11], v[14:15]
	v_fma_f64 v[10:11], v[30:31], v[10:11], -v[1:2]
	v_fma_f64 v[1:2], -v[30:31], v[8:9], v[3:4]
	v_fma_f64 v[3:4], v[32:33], v[8:9], v[18:19]
	v_fma_f64 v[18:19], v[30:31], v[8:9], v[14:15]
	;; [unrolled: 1-line block ×3, first 2 shown]
	v_add_u32_e32 v14, 0, v34
	ds_write_b128 v13, v[1:4] offset:8192
	ds_write_b128 v17, v[18:21] offset:57344
	v_or_b32_e32 v15, 0x5000, v16
	ds_read_b128 v[1:4], v14
	ds_read_b128 v[8:11], v17 offset:53248
	global_load_dwordx4 v[18:21], v15, s[4:5]
	v_or_b32_e32 v15, 0x6000, v16
	s_waitcnt lgkmcnt(0)
	v_add_f64 v[30:31], v[1:2], v[8:9]
	v_add_f64 v[32:33], v[10:11], v[3:4]
	v_add_f64 v[34:35], v[1:2], -v[8:9]
	v_add_f64 v[1:2], v[3:4], -v[10:11]
	s_waitcnt vmcnt(2)
	v_fma_f64 v[3:4], v[34:35], v[28:29], v[30:31]
	v_fma_f64 v[8:9], v[32:33], v[28:29], v[1:2]
	v_fma_f64 v[10:11], -v[34:35], v[28:29], v[30:31]
	v_fma_f64 v[28:29], v[32:33], v[28:29], -v[1:2]
	v_fma_f64 v[1:2], -v[32:33], v[26:27], v[3:4]
	v_fma_f64 v[3:4], v[34:35], v[26:27], v[8:9]
	v_fma_f64 v[8:9], v[32:33], v[26:27], v[10:11]
	v_fma_f64 v[10:11], v[34:35], v[26:27], v[28:29]
	ds_write_b128 v14, v[1:4]
	ds_write_b128 v17, v[8:11] offset:53248
	ds_read_b128 v[1:4], v13 offset:16384
	ds_read_b128 v[8:11], v17 offset:49152
	global_load_dwordx4 v[26:29], v15, s[4:5]
	v_or_b32_e32 v15, 0x7000, v12
	s_waitcnt lgkmcnt(0)
	v_add_f64 v[30:31], v[1:2], v[8:9]
	v_add_f64 v[32:33], v[10:11], v[3:4]
	v_add_f64 v[34:35], v[1:2], -v[8:9]
	v_add_f64 v[1:2], v[3:4], -v[10:11]
	s_waitcnt vmcnt(2)
	v_fma_f64 v[3:4], v[34:35], v[24:25], v[30:31]
	v_fma_f64 v[8:9], v[32:33], v[24:25], v[1:2]
	v_fma_f64 v[10:11], -v[34:35], v[24:25], v[30:31]
	v_fma_f64 v[24:25], v[32:33], v[24:25], -v[1:2]
	v_fma_f64 v[1:2], -v[32:33], v[22:23], v[3:4]
	v_fma_f64 v[3:4], v[34:35], v[22:23], v[8:9]
	v_fma_f64 v[8:9], v[32:33], v[22:23], v[10:11]
	;; [unrolled: 1-line block ×3, first 2 shown]
	ds_write_b128 v13, v[1:4] offset:16384
	ds_write_b128 v17, v[8:11] offset:49152
	ds_read_b128 v[8:11], v13 offset:20480
	ds_read_b128 v[22:25], v17 offset:45056
	global_load_dwordx4 v[1:4], v15, s[4:5]
	v_add_u32_e32 v15, 0, v15
	s_mov_b32 s5, 0x3fe6a09e
	s_mov_b32 s4, s0
	s_waitcnt lgkmcnt(0)
	v_add_f64 v[30:31], v[8:9], v[22:23]
	v_add_f64 v[32:33], v[24:25], v[10:11]
	v_add_f64 v[22:23], v[8:9], -v[22:23]
	v_add_f64 v[8:9], v[10:11], -v[24:25]
	s_waitcnt vmcnt(2)
	v_fma_f64 v[10:11], v[22:23], v[20:21], v[30:31]
	v_fma_f64 v[24:25], v[32:33], v[20:21], v[8:9]
	v_fma_f64 v[30:31], -v[22:23], v[20:21], v[30:31]
	v_fma_f64 v[34:35], v[32:33], v[20:21], -v[8:9]
	v_fma_f64 v[8:9], -v[32:33], v[18:19], v[10:11]
	v_fma_f64 v[10:11], v[22:23], v[18:19], v[24:25]
	v_fma_f64 v[20:21], v[32:33], v[18:19], v[30:31]
	;; [unrolled: 1-line block ×3, first 2 shown]
	ds_write_b128 v13, v[8:11] offset:20480
	ds_write_b128 v17, v[20:23] offset:45056
	ds_read_b128 v[8:11], v13 offset:24576
	ds_read_b128 v[18:21], v17 offset:40960
	s_waitcnt lgkmcnt(0)
	v_add_f64 v[22:23], v[8:9], v[18:19]
	v_add_f64 v[24:25], v[20:21], v[10:11]
	v_add_f64 v[30:31], v[8:9], -v[18:19]
	v_add_f64 v[8:9], v[10:11], -v[20:21]
	s_waitcnt vmcnt(1)
	v_fma_f64 v[10:11], v[30:31], v[28:29], v[22:23]
	v_fma_f64 v[18:19], v[24:25], v[28:29], v[8:9]
	v_fma_f64 v[20:21], -v[30:31], v[28:29], v[22:23]
	v_fma_f64 v[22:23], v[24:25], v[28:29], -v[8:9]
	v_fma_f64 v[8:9], -v[24:25], v[26:27], v[10:11]
	v_fma_f64 v[10:11], v[30:31], v[26:27], v[18:19]
	v_fma_f64 v[18:19], v[24:25], v[26:27], v[20:21]
	;; [unrolled: 1-line block ×3, first 2 shown]
	ds_write_b128 v13, v[8:11] offset:24576
	ds_write_b128 v17, v[18:21] offset:40960
	ds_read_b128 v[18:21], v15
	ds_read_b128 v[22:25], v17 offset:36864
	s_waitcnt lgkmcnt(0)
	v_add_f64 v[26:27], v[18:19], v[22:23]
	v_add_f64 v[8:9], v[24:25], v[20:21]
	v_add_f64 v[10:11], v[18:19], -v[22:23]
	v_add_f64 v[18:19], v[20:21], -v[24:25]
	s_waitcnt vmcnt(0)
	v_fma_f64 v[20:21], v[10:11], v[3:4], v[26:27]
	v_fma_f64 v[22:23], v[8:9], v[3:4], v[18:19]
	v_fma_f64 v[24:25], -v[10:11], v[3:4], v[26:27]
	v_fma_f64 v[3:4], v[8:9], v[3:4], -v[18:19]
	v_and_b32_e32 v26, 15, v0
	v_or_b32_e32 v0, v16, v0
	v_and_b32_e32 v0, 0xf0f, v0
	v_lshl_add_u32 v0, v0, 4, 0
	v_fma_f64 v[18:19], -v[8:9], v[1:2], v[20:21]
	v_fma_f64 v[20:21], v[10:11], v[1:2], v[22:23]
	v_fma_f64 v[8:9], v[8:9], v[1:2], v[24:25]
	;; [unrolled: 1-line block ×3, first 2 shown]
	v_mul_u32_u24_e32 v1, 15, v26
	v_lshlrev_b32_e32 v98, 4, v1
	ds_write_b128 v15, v[18:21]
	ds_write_b128 v17, v[8:11] offset:36864
	s_waitcnt lgkmcnt(0)
	s_barrier
	s_barrier
	ds_read_b128 v[1:4], v13
	ds_read_b128 v[8:11], v13 offset:4096
	ds_read_b128 v[17:20], v13 offset:32768
	;; [unrolled: 1-line block ×15, first 2 shown]
	s_waitcnt lgkmcnt(13)
	v_add_f64 v[17:18], v[1:2], -v[17:18]
	v_add_f64 v[19:20], v[3:4], -v[19:20]
	s_waitcnt lgkmcnt(9)
	v_add_f64 v[33:34], v[25:26], -v[33:34]
	v_add_f64 v[35:36], v[27:28], -v[35:36]
	;; [unrolled: 3-line block ×4, first 2 shown]
	v_add_f64 v[21:22], v[8:9], -v[21:22]
	v_add_f64 v[23:24], v[10:11], -v[23:24]
	;; [unrolled: 1-line block ×6, first 2 shown]
	s_waitcnt lgkmcnt(0)
	v_add_f64 v[69:70], v[61:62], -v[69:70]
	v_add_f64 v[71:72], v[63:64], -v[71:72]
	v_fma_f64 v[1:2], v[1:2], 2.0, -v[17:18]
	v_fma_f64 v[3:4], v[3:4], 2.0, -v[19:20]
	;; [unrolled: 1-line block ×16, first 2 shown]
	v_add_f64 v[35:36], v[17:18], v[35:36]
	v_add_f64 v[67:68], v[49:50], v[67:68]
	v_add_f64 v[33:34], v[19:20], -v[33:34]
	v_add_f64 v[65:66], v[51:52], -v[65:66]
	v_add_f64 v[39:40], v[21:22], v[39:40]
	v_add_f64 v[37:38], v[23:24], -v[37:38]
	v_add_f64 v[71:72], v[53:54], v[71:72]
	v_add_f64 v[69:70], v[55:56], -v[69:70]
	v_add_f64 v[25:26], v[1:2], -v[25:26]
	;; [unrolled: 1-line block ×9, first 2 shown]
	v_fma_f64 v[73:74], v[67:68], s[4:5], v[35:36]
	v_fma_f64 v[75:76], v[65:66], s[4:5], v[33:34]
	;; [unrolled: 1-line block ×4, first 2 shown]
	v_fma_f64 v[21:22], v[21:22], 2.0, -v[39:40]
	v_fma_f64 v[53:54], v[53:54], 2.0, -v[71:72]
	;; [unrolled: 1-line block ×8, first 2 shown]
	v_add_f64 v[51:52], v[25:26], v[59:60]
	v_add_f64 v[55:56], v[27:28], -v[57:58]
	v_add_f64 v[85:86], v[29:30], v[63:64]
	v_add_f64 v[87:88], v[31:32], -v[61:62]
	v_fma_f64 v[65:66], v[65:66], s[4:5], v[73:74]
	v_fma_f64 v[67:68], v[67:68], s[0:1], v[75:76]
	;; [unrolled: 1-line block ×4, first 2 shown]
	v_fma_f64 v[73:74], v[1:2], 2.0, -v[25:26]
	v_fma_f64 v[75:76], v[3:4], 2.0, -v[27:28]
	;; [unrolled: 1-line block ×8, first 2 shown]
	v_fma_f64 v[45:46], v[53:54], s[0:1], v[21:22]
	v_fma_f64 v[47:48], v[49:50], s[0:1], v[23:24]
	;; [unrolled: 1-line block ×6, first 2 shown]
	v_fma_f64 v[77:78], v[25:26], 2.0, -v[51:52]
	v_fma_f64 v[79:80], v[27:28], 2.0, -v[55:56]
	v_fma_f64 v[25:26], v[69:70], s[14:15], v[65:66]
	v_fma_f64 v[27:28], v[71:72], s[14:15], v[67:68]
	v_fma_f64 v[39:40], v[39:40], 2.0, -v[69:70]
	v_fma_f64 v[37:38], v[37:38], 2.0, -v[71:72]
	;; [unrolled: 1-line block ×4, first 2 shown]
	v_add_f64 v[33:34], v[73:74], -v[1:2]
	v_add_f64 v[35:36], v[75:76], -v[3:4]
	v_fma_f64 v[45:46], v[49:50], s[4:5], v[45:46]
	v_fma_f64 v[47:48], v[53:54], s[0:1], v[47:48]
	v_fma_f64 v[49:50], v[17:18], s[0:1], v[57:58]
	v_fma_f64 v[53:54], v[19:20], s[4:5], v[59:60]
	v_fma_f64 v[29:30], v[29:30], 2.0, -v[85:86]
	v_fma_f64 v[31:32], v[31:32], 2.0, -v[87:88]
	v_add_f64 v[93:94], v[43:44], -v[8:9]
	v_add_f64 v[95:96], v[41:42], -v[10:11]
	v_fma_f64 v[1:2], v[87:88], s[4:5], v[61:62]
	v_fma_f64 v[3:4], v[85:86], s[0:1], v[63:64]
	;; [unrolled: 1-line block ×6, first 2 shown]
	v_fma_f64 v[61:62], v[73:74], 2.0, -v[33:34]
	v_fma_f64 v[63:64], v[21:22], 2.0, -v[45:46]
	;; [unrolled: 1-line block ×6, first 2 shown]
	v_fma_f64 v[57:58], v[29:30], s[0:1], v[77:78]
	v_fma_f64 v[59:60], v[31:32], s[0:1], v[79:80]
	v_add_f64 v[17:18], v[33:34], v[93:94]
	v_add_f64 v[19:20], v[35:36], -v[95:96]
	v_fma_f64 v[41:42], v[41:42], 2.0, -v[95:96]
	v_fma_f64 v[43:44], v[43:44], 2.0, -v[93:94]
	v_fma_f64 v[71:72], v[47:48], s[10:11], v[49:50]
	v_fma_f64 v[83:84], v[45:46], s[10:11], v[53:54]
	;; [unrolled: 1-line block ×8, first 2 shown]
	v_fma_f64 v[29:30], v[33:34], 2.0, -v[17:18]
	v_fma_f64 v[31:32], v[35:36], 2.0, -v[19:20]
	v_add_f64 v[33:34], v[61:62], -v[41:42]
	v_add_f64 v[35:36], v[69:70], -v[43:44]
	s_barrier
	ds_write_b128 v97, v[17:20] offset:192
	v_fma_f64 v[17:18], v[51:52], 2.0, -v[1:2]
	v_fma_f64 v[19:20], v[55:56], 2.0, -v[3:4]
	ds_write_b128 v97, v[1:4] offset:224
	v_fma_f64 v[1:2], v[65:66], 2.0, -v[8:9]
	v_fma_f64 v[3:4], v[67:68], 2.0, -v[10:11]
	ds_write_b128 v97, v[8:11] offset:240
	v_fma_f64 v[10:11], v[45:46], s[6:7], v[71:72]
	v_fma_f64 v[8:9], v[47:48], s[14:15], v[83:84]
	;; [unrolled: 1-line block ×4, first 2 shown]
	ds_write_b128 v97, v[29:32] offset:64
	ds_write_b128 v97, v[17:20] offset:96
	;; [unrolled: 1-line block ×3, first 2 shown]
	v_fma_f64 v[1:2], v[61:62], 2.0, -v[33:34]
	v_fma_f64 v[3:4], v[69:70], 2.0, -v[35:36]
	;; [unrolled: 1-line block ×4, first 2 shown]
	ds_write_b128 v97, v[21:24] offset:160
	v_fma_f64 v[21:22], v[89:90], 2.0, -v[25:26]
	v_fma_f64 v[23:24], v[91:92], 2.0, -v[27:28]
	;; [unrolled: 1-line block ×4, first 2 shown]
	ds_write_b128 v97, v[33:36] offset:128
	v_fma_f64 v[33:34], v[75:76], 2.0, -v[37:38]
	v_fma_f64 v[35:36], v[81:82], 2.0, -v[39:40]
	ds_write_b128 v97, v[25:28] offset:176
	ds_write_b128 v97, v[8:11] offset:208
	ds_write_b128 v97, v[1:4]
	ds_write_b128 v97, v[17:20] offset:32
	ds_write_b128 v97, v[21:24] offset:48
	;; [unrolled: 1-line block ×5, first 2 shown]
	s_waitcnt lgkmcnt(0)
	s_barrier
	global_load_dwordx4 v[1:4], v98, s[8:9]
	global_load_dwordx4 v[8:11], v98, s[8:9] offset:16
	global_load_dwordx4 v[17:20], v98, s[8:9] offset:32
	;; [unrolled: 1-line block ×14, first 2 shown]
	ds_read_b128 v[69:72], v13 offset:4096
	ds_read_b128 v[73:76], v13 offset:8192
	;; [unrolled: 1-line block ×7, first 2 shown]
	ds_read_b128 v[97:100], v13
	ds_read_b128 v[101:104], v13 offset:32768
	ds_read_b128 v[105:108], v13 offset:36864
	ds_read_b128 v[109:112], v13 offset:40960
	ds_read_b128 v[113:116], v13 offset:45056
	s_waitcnt vmcnt(14) lgkmcnt(11)
	v_mul_f64 v[117:118], v[71:72], v[3:4]
	v_mul_f64 v[3:4], v[69:70], v[3:4]
	s_waitcnt vmcnt(13) lgkmcnt(10)
	v_mul_f64 v[119:120], v[75:76], v[10:11]
	v_mul_f64 v[10:11], v[73:74], v[10:11]
	;; [unrolled: 3-line block ×3, first 2 shown]
	v_fma_f64 v[69:70], v[69:70], v[1:2], v[117:118]
	v_mul_f64 v[117:118], v[79:80], v[19:20]
	v_mul_f64 v[19:20], v[77:78], v[19:20]
	v_fma_f64 v[73:74], v[73:74], v[8:9], v[119:120]
	s_waitcnt vmcnt(9) lgkmcnt(6)
	v_mul_f64 v[119:120], v[91:92], v[31:32]
	v_mul_f64 v[31:32], v[89:90], v[31:32]
	v_fma_f64 v[71:72], v[71:72], v[1:2], -v[3:4]
	v_fma_f64 v[75:76], v[75:76], v[8:9], -v[10:11]
	ds_read_b128 v[1:4], v13 offset:49152
	ds_read_b128 v[8:11], v13 offset:53248
	v_fma_f64 v[77:78], v[77:78], v[17:18], v[117:118]
	v_mul_f64 v[117:118], v[87:88], v[27:28]
	v_mul_f64 v[27:28], v[85:86], v[27:28]
	v_fma_f64 v[89:90], v[89:90], v[29:30], v[119:120]
	v_fma_f64 v[29:30], v[91:92], v[29:30], -v[31:32]
	s_waitcnt vmcnt(6) lgkmcnt(4)
	v_mul_f64 v[31:32], v[107:108], v[43:44]
	v_mul_f64 v[43:44], v[105:106], v[43:44]
	v_fma_f64 v[79:80], v[79:80], v[17:18], -v[19:20]
	v_fma_f64 v[81:82], v[81:82], v[21:22], v[121:122]
	v_fma_f64 v[85:86], v[85:86], v[25:26], v[117:118]
	v_fma_f64 v[25:26], v[87:88], v[25:26], -v[27:28]
	v_mul_f64 v[27:28], v[95:96], v[35:36]
	v_mul_f64 v[35:36], v[93:94], v[35:36]
	;; [unrolled: 1-line block ×4, first 2 shown]
	v_fma_f64 v[83:84], v[83:84], v[21:22], -v[23:24]
	ds_read_b128 v[17:20], v13 offset:57344
	ds_read_b128 v[21:24], v13 offset:61440
	s_waitcnt vmcnt(5) lgkmcnt(5)
	v_mul_f64 v[91:92], v[111:112], v[47:48]
	v_mul_f64 v[47:48], v[109:110], v[47:48]
	v_fma_f64 v[27:28], v[93:94], v[33:34], v[27:28]
	v_fma_f64 v[33:34], v[95:96], v[33:34], -v[35:36]
	s_waitcnt vmcnt(4) lgkmcnt(4)
	v_mul_f64 v[35:36], v[115:116], v[51:52]
	v_mul_f64 v[51:52], v[113:114], v[51:52]
	s_waitcnt vmcnt(3) lgkmcnt(3)
	v_mul_f64 v[93:94], v[3:4], v[55:56]
	v_mul_f64 v[55:56], v[1:2], v[55:56]
	v_fma_f64 v[87:88], v[101:102], v[37:38], v[87:88]
	v_fma_f64 v[37:38], v[103:104], v[37:38], -v[39:40]
	s_waitcnt vmcnt(2) lgkmcnt(2)
	v_mul_f64 v[39:40], v[10:11], v[59:60]
	v_mul_f64 v[59:60], v[8:9], v[59:60]
	s_waitcnt vmcnt(1) lgkmcnt(1)
	v_mul_f64 v[95:96], v[19:20], v[63:64]
	v_mul_f64 v[63:64], v[17:18], v[63:64]
	v_fma_f64 v[31:32], v[105:106], v[41:42], v[31:32]
	v_fma_f64 v[41:42], v[107:108], v[41:42], -v[43:44]
	s_waitcnt vmcnt(0) lgkmcnt(0)
	v_mul_f64 v[43:44], v[23:24], v[67:68]
	v_mul_f64 v[67:68], v[21:22], v[67:68]
	v_fma_f64 v[91:92], v[109:110], v[45:46], v[91:92]
	v_fma_f64 v[45:46], v[111:112], v[45:46], -v[47:48]
	v_fma_f64 v[35:36], v[113:114], v[49:50], v[35:36]
	v_fma_f64 v[47:48], v[115:116], v[49:50], -v[51:52]
	;; [unrolled: 2-line block ×6, first 2 shown]
	v_add_f64 v[39:40], v[97:98], -v[87:88]
	v_add_f64 v[37:38], v[99:100], -v[37:38]
	;; [unrolled: 1-line block ×16, first 2 shown]
	v_add_f64 v[53:54], v[39:40], v[3:4]
	v_add_f64 v[55:56], v[37:38], -v[1:2]
	v_add_f64 v[57:58], v[43:44], v[19:20]
	v_add_f64 v[59:60], v[45:46], -v[17:18]
	v_add_f64 v[61:62], v[31:32], v[10:11]
	v_add_f64 v[63:64], v[35:36], v[23:24]
	v_add_f64 v[67:68], v[41:42], -v[8:9]
	v_add_f64 v[65:66], v[47:48], -v[21:22]
	v_fma_f64 v[49:50], v[97:98], 2.0, -v[39:40]
	v_fma_f64 v[51:52], v[99:100], 2.0, -v[37:38]
	;; [unrolled: 1-line block ×18, first 2 shown]
	v_fma_f64 v[41:42], v[43:44], s[0:1], v[39:40]
	v_fma_f64 v[69:70], v[45:46], s[0:1], v[37:38]
	;; [unrolled: 1-line block ×4, first 2 shown]
	v_fma_f64 v[10:11], v[25:26], 2.0, -v[10:11]
	v_fma_f64 v[25:26], v[77:78], 2.0, -v[35:36]
	;; [unrolled: 1-line block ×4, first 2 shown]
	v_fma_f64 v[77:78], v[45:46], s[4:5], v[41:42]
	v_fma_f64 v[69:70], v[43:44], s[0:1], v[69:70]
	v_fma_f64 v[41:42], v[87:88], s[4:5], v[71:72]
	v_fma_f64 v[43:44], v[83:84], s[0:1], v[89:90]
	v_fma_f64 v[23:24], v[33:34], 2.0, -v[23:24]
	v_fma_f64 v[21:22], v[27:28], 2.0, -v[21:22]
	v_add_f64 v[27:28], v[49:50], -v[1:2]
	v_add_f64 v[33:34], v[51:52], -v[3:4]
	v_fma_f64 v[45:46], v[39:40], 2.0, -v[77:78]
	v_fma_f64 v[47:48], v[37:38], 2.0, -v[69:70]
	;; [unrolled: 1-line block ×4, first 2 shown]
	v_add_f64 v[17:18], v[73:74], -v[17:18]
	v_add_f64 v[19:20], v[75:76], -v[19:20]
	;; [unrolled: 1-line block ×6, first 2 shown]
	v_fma_f64 v[37:38], v[3:4], s[6:7], v[45:46]
	v_fma_f64 v[39:40], v[1:2], s[6:7], v[47:48]
	v_fma_f64 v[71:72], v[57:58], s[4:5], v[53:54]
	v_fma_f64 v[79:80], v[59:60], s[4:5], v[55:56]
	v_fma_f64 v[81:82], v[63:64], s[4:5], v[61:62]
	v_fma_f64 v[83:84], v[65:66], s[4:5], v[67:68]
	v_add_f64 v[85:86], v[27:28], v[19:20]
	v_add_f64 v[87:88], v[33:34], -v[17:18]
	v_fma_f64 v[1:2], v[1:2], s[10:11], v[37:38]
	v_fma_f64 v[3:4], v[3:4], s[12:13], v[39:40]
	v_add_f64 v[37:38], v[8:9], v[23:24]
	v_add_f64 v[39:40], v[10:11], -v[21:22]
	v_fma_f64 v[71:72], v[59:60], s[4:5], v[71:72]
	v_fma_f64 v[79:80], v[57:58], s[0:1], v[79:80]
	;; [unrolled: 1-line block ×4, first 2 shown]
	v_fma_f64 v[63:64], v[27:28], 2.0, -v[85:86]
	v_fma_f64 v[65:66], v[33:34], 2.0, -v[87:88]
	;; [unrolled: 1-line block ×16, first 2 shown]
	v_fma_f64 v[21:22], v[81:82], s[0:1], v[63:64]
	v_fma_f64 v[23:24], v[83:84], s[0:1], v[65:66]
	;; [unrolled: 1-line block ×4, first 2 shown]
	v_add_f64 v[73:74], v[27:28], -v[17:18]
	v_add_f64 v[75:76], v[33:34], -v[19:20]
	;; [unrolled: 1-line block ×4, first 2 shown]
	v_fma_f64 v[8:9], v[83:84], s[4:5], v[21:22]
	v_fma_f64 v[10:11], v[81:82], s[0:1], v[23:24]
	v_fma_f64 v[17:18], v[67:68], s[14:15], v[25:26]
	v_fma_f64 v[19:20], v[61:62], s[6:7], v[35:36]
	v_fma_f64 v[61:62], v[27:28], 2.0, -v[73:74]
	v_fma_f64 v[67:68], v[33:34], 2.0, -v[75:76]
	;; [unrolled: 1-line block ×4, first 2 shown]
	v_fma_f64 v[25:26], v[41:42], s[10:11], v[77:78]
	v_fma_f64 v[27:28], v[43:44], s[10:11], v[69:70]
	;; [unrolled: 1-line block ×6, first 2 shown]
	v_add_f64 v[21:22], v[61:62], -v[21:22]
	v_add_f64 v[23:24], v[67:68], -v[23:24]
	v_fma_f64 v[25:26], v[43:44], s[14:15], v[25:26]
	v_fma_f64 v[27:28], v[41:42], s[6:7], v[27:28]
	v_add_f64 v[41:42], v[73:74], v[51:52]
	v_add_f64 v[43:44], v[75:76], -v[49:50]
	v_fma_f64 v[29:30], v[39:40], s[4:5], v[29:30]
	v_fma_f64 v[31:32], v[37:38], s[0:1], v[31:32]
	;; [unrolled: 1-line block ×4, first 2 shown]
	v_fma_f64 v[37:38], v[61:62], 2.0, -v[21:22]
	v_fma_f64 v[39:40], v[67:68], 2.0, -v[23:24]
	;; [unrolled: 1-line block ×16, first 2 shown]
	s_barrier
	ds_write_b128 v0, v[37:40]
	ds_write_b128 v0, v[45:48] offset:256
	ds_write_b128 v0, v[49:52] offset:512
	;; [unrolled: 1-line block ×15, first 2 shown]
	v_mul_u32_u24_e32 v0, 15, v7
	v_lshlrev_b32_e32 v4, 4, v0
	s_waitcnt lgkmcnt(0)
	s_barrier
	global_load_dwordx4 v[0:3], v4, s[8:9] offset:3840
	global_load_dwordx4 v[8:11], v4, s[8:9] offset:3856
	;; [unrolled: 1-line block ×15, first 2 shown]
	ds_read_b128 v[68:71], v13 offset:4096
	ds_read_b128 v[72:75], v13
	ds_read_b128 v[76:79], v13 offset:8192
	ds_read_b128 v[80:83], v13 offset:12288
	s_waitcnt vmcnt(14) lgkmcnt(3)
	v_mul_f64 v[84:85], v[70:71], v[2:3]
	v_mul_f64 v[2:3], v[68:69], v[2:3]
	s_waitcnt vmcnt(13) lgkmcnt(1)
	v_mul_f64 v[88:89], v[78:79], v[10:11]
	v_mul_f64 v[10:11], v[76:77], v[10:11]
	;; [unrolled: 3-line block ×3, first 2 shown]
	v_fma_f64 v[68:69], v[68:69], v[0:1], v[84:85]
	ds_read_b128 v[84:87], v13 offset:16384
	v_fma_f64 v[70:71], v[70:71], v[0:1], -v[2:3]
	ds_read_b128 v[0:3], v13 offset:20480
	v_fma_f64 v[76:77], v[76:77], v[8:9], v[88:89]
	v_fma_f64 v[78:79], v[78:79], v[8:9], -v[10:11]
	s_waitcnt vmcnt(11) lgkmcnt(1)
	v_mul_f64 v[88:89], v[86:87], v[22:23]
	v_mul_f64 v[22:23], v[84:85], v[22:23]
	v_fma_f64 v[80:81], v[80:81], v[16:17], v[90:91]
	v_fma_f64 v[82:83], v[82:83], v[16:17], -v[18:19]
	ds_read_b128 v[8:11], v13 offset:24576
	ds_read_b128 v[16:19], v13 offset:28672
	s_waitcnt vmcnt(10) lgkmcnt(2)
	v_mul_f64 v[90:91], v[2:3], v[26:27]
	v_mul_f64 v[26:27], v[0:1], v[26:27]
	v_fma_f64 v[84:85], v[84:85], v[20:21], v[88:89]
	s_waitcnt vmcnt(9) lgkmcnt(1)
	v_mul_f64 v[88:89], v[10:11], v[30:31]
	v_mul_f64 v[30:31], v[8:9], v[30:31]
	s_waitcnt vmcnt(8) lgkmcnt(0)
	v_mul_f64 v[92:93], v[18:19], v[34:35]
	v_fma_f64 v[86:87], v[86:87], v[20:21], -v[22:23]
	v_mul_f64 v[20:21], v[16:17], v[34:35]
	v_fma_f64 v[90:91], v[0:1], v[24:25], v[90:91]
	v_fma_f64 v[24:25], v[2:3], v[24:25], -v[26:27]
	ds_read_b128 v[0:3], v13 offset:32768
	v_fma_f64 v[26:27], v[8:9], v[28:29], v[88:89]
	v_fma_f64 v[28:29], v[10:11], v[28:29], -v[30:31]
	ds_read_b128 v[8:11], v13 offset:36864
	;; [unrolled: 3-line block ×3, first 2 shown]
	ds_read_b128 v[20:23], v13 offset:45056
	s_waitcnt vmcnt(7) lgkmcnt(3)
	v_mul_f64 v[34:35], v[2:3], v[38:39]
	v_mul_f64 v[38:39], v[0:1], v[38:39]
	s_waitcnt vmcnt(6) lgkmcnt(2)
	v_mul_f64 v[88:89], v[10:11], v[42:43]
	v_mul_f64 v[42:43], v[8:9], v[42:43]
	;; [unrolled: 3-line block ×4, first 2 shown]
	v_fma_f64 v[34:35], v[0:1], v[36:37], v[34:35]
	v_fma_f64 v[36:37], v[2:3], v[36:37], -v[38:39]
	v_fma_f64 v[38:39], v[8:9], v[40:41], v[88:89]
	v_fma_f64 v[40:41], v[10:11], v[40:41], -v[42:43]
	v_fma_f64 v[42:43], v[16:17], v[44:45], v[92:93]
	ds_read_b128 v[0:3], v13 offset:49152
	ds_read_b128 v[8:11], v13 offset:53248
	v_fma_f64 v[44:45], v[18:19], v[44:45], -v[46:47]
	ds_read_b128 v[16:19], v13 offset:57344
	v_fma_f64 v[46:47], v[20:21], v[48:49], v[94:95]
	v_fma_f64 v[48:49], v[22:23], v[48:49], -v[50:51]
	ds_read_b128 v[20:23], v13 offset:61440
	s_waitcnt vmcnt(3) lgkmcnt(3)
	v_mul_f64 v[50:51], v[2:3], v[54:55]
	v_mul_f64 v[54:55], v[0:1], v[54:55]
	s_waitcnt vmcnt(2) lgkmcnt(2)
	v_mul_f64 v[88:89], v[10:11], v[58:59]
	v_mul_f64 v[58:59], v[8:9], v[58:59]
	;; [unrolled: 3-line block ×4, first 2 shown]
	v_fma_f64 v[0:1], v[0:1], v[52:53], v[50:51]
	v_fma_f64 v[2:3], v[2:3], v[52:53], -v[54:55]
	v_fma_f64 v[8:9], v[8:9], v[56:57], v[88:89]
	v_fma_f64 v[10:11], v[10:11], v[56:57], -v[58:59]
	v_fma_f64 v[16:17], v[16:17], v[60:61], v[92:93]
	v_fma_f64 v[18:19], v[18:19], v[60:61], -v[62:63]
	v_fma_f64 v[20:21], v[20:21], v[64:65], v[94:95]
	v_fma_f64 v[22:23], v[22:23], v[64:65], -v[66:67]
	v_add_f64 v[34:35], v[72:73], -v[34:35]
	v_add_f64 v[36:37], v[74:75], -v[36:37]
	;; [unrolled: 1-line block ×16, first 2 shown]
	v_add_f64 v[54:55], v[34:35], v[50:51]
	v_add_f64 v[56:57], v[36:37], -v[52:53]
	v_add_f64 v[58:59], v[42:43], v[18:19]
	v_add_f64 v[60:61], v[44:45], -v[16:17]
	v_add_f64 v[62:63], v[38:39], v[10:11]
	v_add_f64 v[64:65], v[46:47], v[22:23]
	v_add_f64 v[66:67], v[48:49], -v[20:21]
	v_add_f64 v[88:89], v[40:41], -v[8:9]
	v_fma_f64 v[0:1], v[34:35], 2.0, -v[54:55]
	v_fma_f64 v[2:3], v[36:37], 2.0, -v[56:57]
	v_fma_f64 v[92:93], v[42:43], 2.0, -v[58:59]
	v_fma_f64 v[94:95], v[44:45], 2.0, -v[60:61]
	v_fma_f64 v[96:97], v[38:39], 2.0, -v[62:63]
	v_fma_f64 v[34:35], v[72:73], 2.0, -v[34:35]
	v_fma_f64 v[36:37], v[74:75], 2.0, -v[36:37]
	v_fma_f64 v[52:53], v[84:85], 2.0, -v[52:53]
	v_fma_f64 v[50:51], v[86:87], 2.0, -v[50:51]
	v_fma_f64 v[42:43], v[76:77], 2.0, -v[42:43]
	v_fma_f64 v[44:45], v[78:79], 2.0, -v[44:45]
	v_fma_f64 v[16:17], v[26:27], 2.0, -v[16:17]
	v_fma_f64 v[18:19], v[28:29], 2.0, -v[18:19]
	v_fma_f64 v[26:27], v[68:69], 2.0, -v[38:39]
	v_fma_f64 v[28:29], v[70:71], 2.0, -v[40:41]
	v_fma_f64 v[8:9], v[90:91], 2.0, -v[8:9]
	v_fma_f64 v[10:11], v[24:25], 2.0, -v[10:11]
	v_fma_f64 v[24:25], v[80:81], 2.0, -v[46:47]
	v_fma_f64 v[38:39], v[82:83], 2.0, -v[48:49]
	v_fma_f64 v[22:23], v[32:33], 2.0, -v[22:23]
	v_fma_f64 v[20:21], v[30:31], 2.0, -v[20:21]
	v_add_f64 v[30:31], v[34:35], -v[52:53]
	v_add_f64 v[32:33], v[36:37], -v[50:51]
	;; [unrolled: 1-line block ×8, first 2 shown]
	v_fma_f64 v[98:99], v[46:47], 2.0, -v[64:65]
	v_fma_f64 v[100:101], v[48:49], 2.0, -v[66:67]
	;; [unrolled: 1-line block ×3, first 2 shown]
	v_fma_f64 v[46:47], v[60:61], s[4:5], v[56:57]
	v_fma_f64 v[50:51], v[66:67], s[4:5], v[88:89]
	;; [unrolled: 1-line block ×4, first 2 shown]
	v_add_f64 v[68:69], v[30:31], v[18:19]
	v_add_f64 v[70:71], v[32:33], -v[16:17]
	v_add_f64 v[52:53], v[8:9], v[22:23]
	v_add_f64 v[72:73], v[10:11], -v[20:21]
	v_fma_f64 v[104:105], v[92:93], s[0:1], v[0:1]
	v_fma_f64 v[106:107], v[94:95], s[0:1], v[2:3]
	;; [unrolled: 1-line block ×8, first 2 shown]
	v_fma_f64 v[48:49], v[30:31], 2.0, -v[68:69]
	v_fma_f64 v[50:51], v[32:33], 2.0, -v[70:71]
	;; [unrolled: 1-line block ×12, first 2 shown]
	v_fma_f64 v[94:95], v[94:95], s[4:5], v[104:105]
	v_fma_f64 v[92:93], v[92:93], s[0:1], v[106:107]
	;; [unrolled: 1-line block ×4, first 2 shown]
	v_fma_f64 v[56:57], v[56:57], 2.0, -v[76:77]
	v_fma_f64 v[64:65], v[88:89], 2.0, -v[46:47]
	;; [unrolled: 1-line block ×4, first 2 shown]
	v_fma_f64 v[20:21], v[58:59], s[0:1], v[48:49]
	v_fma_f64 v[22:23], v[60:61], s[0:1], v[50:51]
	v_add_f64 v[66:67], v[30:31], -v[16:17]
	v_add_f64 v[78:79], v[32:33], -v[18:19]
	;; [unrolled: 1-line block ×4, first 2 shown]
	v_fma_f64 v[104:105], v[0:1], 2.0, -v[94:95]
	v_fma_f64 v[106:107], v[2:3], 2.0, -v[92:93]
	;; [unrolled: 1-line block ×4, first 2 shown]
	v_fma_f64 v[34:35], v[64:65], s[12:13], v[56:57]
	v_fma_f64 v[24:25], v[62:63], s[12:13], v[54:55]
	;; [unrolled: 1-line block ×4, first 2 shown]
	v_fma_f64 v[36:37], v[30:31], 2.0, -v[66:67]
	v_fma_f64 v[38:39], v[32:33], 2.0, -v[78:79]
	;; [unrolled: 1-line block ×4, first 2 shown]
	v_fma_f64 v[96:97], v[2:3], s[6:7], v[104:105]
	v_fma_f64 v[102:103], v[0:1], s[6:7], v[106:107]
	;; [unrolled: 1-line block ×10, first 2 shown]
	v_add_f64 v[20:21], v[36:37], -v[20:21]
	v_add_f64 v[22:23], v[38:39], -v[22:23]
	v_fma_f64 v[0:1], v[0:1], s[10:11], v[96:97]
	v_fma_f64 v[2:3], v[2:3], s[12:13], v[102:103]
	;; [unrolled: 1-line block ×3, first 2 shown]
	v_add_f64 v[40:41], v[66:67], v[44:45]
	v_add_f64 v[42:43], v[78:79], -v[42:43]
	v_fma_f64 v[24:25], v[98:99], s[14:15], v[24:25]
	v_fma_f64 v[26:27], v[100:101], s[6:7], v[26:27]
	;; [unrolled: 1-line block ×5, first 2 shown]
	v_fma_f64 v[36:37], v[36:37], 2.0, -v[20:21]
	v_fma_f64 v[38:39], v[38:39], 2.0, -v[22:23]
	;; [unrolled: 1-line block ×16, first 2 shown]
	s_barrier
	ds_write_b128 v13, v[36:39]
	ds_write_b128 v13, v[44:47] offset:4096
	ds_write_b128 v13, v[48:51] offset:8192
	ds_write_b128 v14, v[52:55]
	ds_write_b128 v13, v[56:59] offset:16384
	ds_write_b128 v13, v[60:63] offset:20480
	;; [unrolled: 1-line block ×3, first 2 shown]
	ds_write_b128 v15, v[68:71]
	ds_write_b128 v13, v[20:23] offset:32768
	ds_write_b128 v13, v[0:3] offset:36864
	ds_write_b128 v13, v[8:11] offset:40960
	v_add_u32_e32 v0, 0, v12
	ds_write_b128 v0, v[16:19] offset:45056
	ds_write_b128 v13, v[40:43] offset:49152
	;; [unrolled: 1-line block ×5, first 2 shown]
	s_waitcnt lgkmcnt(0)
	s_barrier
	s_and_saveexec_b64 s[0:1], vcc
	s_cbranch_execz .LBB0_19
; %bb.18:
	v_lshl_add_u32 v13, v7, 4, 0
	v_mov_b32_e32 v8, 0
	ds_read_b128 v[0:3], v13
	ds_read_b128 v[9:12], v13 offset:4096
	v_mov_b32_e32 v4, s3
	v_add_co_u32_e32 v14, vcc, s2, v5
	v_addc_co_u32_e32 v6, vcc, v4, v6, vcc
	v_lshlrev_b64 v[4:5], 4, v[7:8]
	v_add_co_u32_e32 v4, vcc, v14, v4
	v_addc_co_u32_e32 v5, vcc, v6, v5, vcc
	s_waitcnt lgkmcnt(1)
	global_store_dwordx4 v[4:5], v[0:3], off
	v_add_u32_e32 v4, 0x200, v7
	v_add_u32_e32 v0, 0x100, v7
	v_mov_b32_e32 v1, v8
	v_lshlrev_b64 v[0:1], 4, v[0:1]
	v_mov_b32_e32 v5, v8
	v_add_co_u32_e32 v0, vcc, v14, v0
	v_addc_co_u32_e32 v1, vcc, v6, v1, vcc
	s_waitcnt lgkmcnt(0)
	global_store_dwordx4 v[0:1], v[9:12], off
	ds_read_b128 v[0:3], v13 offset:8192
	ds_read_b128 v[9:12], v13 offset:12288
	v_lshlrev_b64 v[4:5], 4, v[4:5]
	v_add_co_u32_e32 v4, vcc, v14, v4
	v_addc_co_u32_e32 v5, vcc, v6, v5, vcc
	s_waitcnt lgkmcnt(1)
	global_store_dwordx4 v[4:5], v[0:3], off
	v_add_u32_e32 v4, 0x400, v7
	v_add_u32_e32 v0, 0x300, v7
	v_mov_b32_e32 v1, v8
	v_lshlrev_b64 v[0:1], 4, v[0:1]
	v_mov_b32_e32 v5, v8
	v_add_co_u32_e32 v0, vcc, v14, v0
	v_addc_co_u32_e32 v1, vcc, v6, v1, vcc
	s_waitcnt lgkmcnt(0)
	global_store_dwordx4 v[0:1], v[9:12], off
	ds_read_b128 v[0:3], v13 offset:16384
	ds_read_b128 v[9:12], v13 offset:20480
	;; [unrolled: 16-line block ×7, first 2 shown]
	v_lshlrev_b64 v[4:5], 4, v[4:5]
	v_add_u32_e32 v7, 0xf00, v7
	v_add_co_u32_e32 v4, vcc, v14, v4
	v_addc_co_u32_e32 v5, vcc, v6, v5, vcc
	s_waitcnt lgkmcnt(1)
	global_store_dwordx4 v[4:5], v[0:3], off
	s_nop 0
	v_lshlrev_b64 v[0:1], 4, v[7:8]
	v_add_co_u32_e32 v0, vcc, v14, v0
	v_addc_co_u32_e32 v1, vcc, v6, v1, vcc
	s_waitcnt lgkmcnt(0)
	global_store_dwordx4 v[0:1], v[9:12], off
.LBB0_19:
	s_endpgm
	.section	.rodata,"a",@progbits
	.p2align	6, 0x0
	.amdhsa_kernel fft_rtc_back_len4096_factors_16_16_16_wgs_256_tpt_256_halfLds_dp_ip_CI_unitstride_sbrr_C2R_dirReg
		.amdhsa_group_segment_fixed_size 0
		.amdhsa_private_segment_fixed_size 0
		.amdhsa_kernarg_size 88
		.amdhsa_user_sgpr_count 6
		.amdhsa_user_sgpr_private_segment_buffer 1
		.amdhsa_user_sgpr_dispatch_ptr 0
		.amdhsa_user_sgpr_queue_ptr 0
		.amdhsa_user_sgpr_kernarg_segment_ptr 1
		.amdhsa_user_sgpr_dispatch_id 0
		.amdhsa_user_sgpr_flat_scratch_init 0
		.amdhsa_user_sgpr_private_segment_size 0
		.amdhsa_uses_dynamic_stack 0
		.amdhsa_system_sgpr_private_segment_wavefront_offset 0
		.amdhsa_system_sgpr_workgroup_id_x 1
		.amdhsa_system_sgpr_workgroup_id_y 0
		.amdhsa_system_sgpr_workgroup_id_z 0
		.amdhsa_system_sgpr_workgroup_info 0
		.amdhsa_system_vgpr_workitem_id 0
		.amdhsa_next_free_vgpr 123
		.amdhsa_next_free_sgpr 22
		.amdhsa_reserve_vcc 1
		.amdhsa_reserve_flat_scratch 0
		.amdhsa_float_round_mode_32 0
		.amdhsa_float_round_mode_16_64 0
		.amdhsa_float_denorm_mode_32 3
		.amdhsa_float_denorm_mode_16_64 3
		.amdhsa_dx10_clamp 1
		.amdhsa_ieee_mode 1
		.amdhsa_fp16_overflow 0
		.amdhsa_exception_fp_ieee_invalid_op 0
		.amdhsa_exception_fp_denorm_src 0
		.amdhsa_exception_fp_ieee_div_zero 0
		.amdhsa_exception_fp_ieee_overflow 0
		.amdhsa_exception_fp_ieee_underflow 0
		.amdhsa_exception_fp_ieee_inexact 0
		.amdhsa_exception_int_div_zero 0
	.end_amdhsa_kernel
	.text
.Lfunc_end0:
	.size	fft_rtc_back_len4096_factors_16_16_16_wgs_256_tpt_256_halfLds_dp_ip_CI_unitstride_sbrr_C2R_dirReg, .Lfunc_end0-fft_rtc_back_len4096_factors_16_16_16_wgs_256_tpt_256_halfLds_dp_ip_CI_unitstride_sbrr_C2R_dirReg
                                        ; -- End function
	.section	.AMDGPU.csdata,"",@progbits
; Kernel info:
; codeLenInByte = 9868
; NumSgprs: 26
; NumVgprs: 123
; ScratchSize: 0
; MemoryBound: 0
; FloatMode: 240
; IeeeMode: 1
; LDSByteSize: 0 bytes/workgroup (compile time only)
; SGPRBlocks: 3
; VGPRBlocks: 30
; NumSGPRsForWavesPerEU: 26
; NumVGPRsForWavesPerEU: 123
; Occupancy: 2
; WaveLimiterHint : 1
; COMPUTE_PGM_RSRC2:SCRATCH_EN: 0
; COMPUTE_PGM_RSRC2:USER_SGPR: 6
; COMPUTE_PGM_RSRC2:TRAP_HANDLER: 0
; COMPUTE_PGM_RSRC2:TGID_X_EN: 1
; COMPUTE_PGM_RSRC2:TGID_Y_EN: 0
; COMPUTE_PGM_RSRC2:TGID_Z_EN: 0
; COMPUTE_PGM_RSRC2:TIDIG_COMP_CNT: 0
	.type	__hip_cuid_c622aec90582d265,@object ; @__hip_cuid_c622aec90582d265
	.section	.bss,"aw",@nobits
	.globl	__hip_cuid_c622aec90582d265
__hip_cuid_c622aec90582d265:
	.byte	0                               ; 0x0
	.size	__hip_cuid_c622aec90582d265, 1

	.ident	"AMD clang version 19.0.0git (https://github.com/RadeonOpenCompute/llvm-project roc-6.4.0 25133 c7fe45cf4b819c5991fe208aaa96edf142730f1d)"
	.section	".note.GNU-stack","",@progbits
	.addrsig
	.addrsig_sym __hip_cuid_c622aec90582d265
	.amdgpu_metadata
---
amdhsa.kernels:
  - .args:
      - .actual_access:  read_only
        .address_space:  global
        .offset:         0
        .size:           8
        .value_kind:     global_buffer
      - .offset:         8
        .size:           8
        .value_kind:     by_value
      - .actual_access:  read_only
        .address_space:  global
        .offset:         16
        .size:           8
        .value_kind:     global_buffer
      - .actual_access:  read_only
        .address_space:  global
        .offset:         24
        .size:           8
        .value_kind:     global_buffer
      - .offset:         32
        .size:           8
        .value_kind:     by_value
      - .actual_access:  read_only
        .address_space:  global
        .offset:         40
        .size:           8
        .value_kind:     global_buffer
      - .actual_access:  read_only
        .address_space:  global
        .offset:         48
        .size:           8
        .value_kind:     global_buffer
      - .offset:         56
        .size:           4
        .value_kind:     by_value
      - .actual_access:  read_only
        .address_space:  global
        .offset:         64
        .size:           8
        .value_kind:     global_buffer
      - .actual_access:  read_only
        .address_space:  global
        .offset:         72
        .size:           8
        .value_kind:     global_buffer
      - .address_space:  global
        .offset:         80
        .size:           8
        .value_kind:     global_buffer
    .group_segment_fixed_size: 0
    .kernarg_segment_align: 8
    .kernarg_segment_size: 88
    .language:       OpenCL C
    .language_version:
      - 2
      - 0
    .max_flat_workgroup_size: 256
    .name:           fft_rtc_back_len4096_factors_16_16_16_wgs_256_tpt_256_halfLds_dp_ip_CI_unitstride_sbrr_C2R_dirReg
    .private_segment_fixed_size: 0
    .sgpr_count:     26
    .sgpr_spill_count: 0
    .symbol:         fft_rtc_back_len4096_factors_16_16_16_wgs_256_tpt_256_halfLds_dp_ip_CI_unitstride_sbrr_C2R_dirReg.kd
    .uniform_work_group_size: 1
    .uses_dynamic_stack: false
    .vgpr_count:     123
    .vgpr_spill_count: 0
    .wavefront_size: 64
amdhsa.target:   amdgcn-amd-amdhsa--gfx906
amdhsa.version:
  - 1
  - 2
...

	.end_amdgpu_metadata
